;; amdgpu-corpus repo=ROCm/rocFFT kind=compiled arch=gfx950 opt=O3
	.text
	.amdgcn_target "amdgcn-amd-amdhsa--gfx950"
	.amdhsa_code_object_version 6
	.protected	fft_rtc_back_len50_factors_5_2_5_wgs_60_tpt_10_dim1_sp_op_CI_CI_unitstride_sbrr_R2C_dirReg ; -- Begin function fft_rtc_back_len50_factors_5_2_5_wgs_60_tpt_10_dim1_sp_op_CI_CI_unitstride_sbrr_R2C_dirReg
	.globl	fft_rtc_back_len50_factors_5_2_5_wgs_60_tpt_10_dim1_sp_op_CI_CI_unitstride_sbrr_R2C_dirReg
	.p2align	8
	.type	fft_rtc_back_len50_factors_5_2_5_wgs_60_tpt_10_dim1_sp_op_CI_CI_unitstride_sbrr_R2C_dirReg,@function
fft_rtc_back_len50_factors_5_2_5_wgs_60_tpt_10_dim1_sp_op_CI_CI_unitstride_sbrr_R2C_dirReg: ; @fft_rtc_back_len50_factors_5_2_5_wgs_60_tpt_10_dim1_sp_op_CI_CI_unitstride_sbrr_R2C_dirReg
; %bb.0:
	v_mul_u32_u24_e32 v1, 0x199a, v0
	v_lshrrev_b32_e32 v2, 16, v1
	s_load_dwordx2 s[6:7], s[0:1], 0x20
	v_mad_u64_u32 v[6:7], s[2:3], s2, 6, v[2:3]
	s_mov_b32 s2, 0xaaaaaaab
	s_nop 0
	v_mul_hi_u32 v1, v6, s2
	v_lshrrev_b32_e32 v1, 2, v1
	v_mov_b32_e32 v7, 0
	v_mul_lo_u32 v1, v1, 6
	s_movk_i32 s4, 0x199a
	v_sub_u32_e32 v1, v6, v1
	s_waitcnt lgkmcnt(0)
	v_cmp_gt_u64_e32 vcc, s[6:7], v[6:7]
	v_cmp_le_u64_e64 s[2:3], s[6:7], v[6:7]
                                        ; implicit-def: $vgpr9
                                        ; implicit-def: $vgpr4
                                        ; implicit-def: $vgpr10
                                        ; implicit-def: $vgpr8
	s_and_saveexec_b64 s[6:7], s[2:3]
	s_xor_b64 s[2:3], exec, s[6:7]
; %bb.1:
	v_mul_u32_u24_sdwa v2, v0, s4 dst_sel:DWORD dst_unused:UNUSED_PAD src0_sel:WORD_0 src1_sel:DWORD
	v_mov_b32_e32 v3, 10
	v_mul_lo_u16_sdwa v2, v2, v3 dst_sel:DWORD dst_unused:UNUSED_PAD src0_sel:WORD_1 src1_sel:DWORD
	v_sub_u16_e32 v4, v0, v2
	v_sub_u16_e32 v9, v0, v2
	v_add_u32_e32 v10, 10, v4
	v_add_u32_e32 v8, 20, v4
                                        ; implicit-def: $vgpr2
                                        ; implicit-def: $vgpr0
; %bb.2:
	s_or_saveexec_b64 s[2:3], s[2:3]
	s_load_dwordx2 s[4:5], s[0:1], 0x18
	v_mul_u32_u24_e32 v1, 51, v1
	v_lshlrev_b32_e32 v24, 3, v1
	s_xor_b64 exec, exec, s[2:3]
	s_cbranch_execz .LBB0_4
; %bb.3:
	s_load_dwordx2 s[6:7], s[0:1], 0x10
	s_load_dwordx2 s[8:9], s[0:1], 0x50
	v_mul_lo_u16_e32 v1, 10, v2
	v_sub_u16_e32 v4, v0, v1
	v_mov_b32_e32 v3, 0
	s_waitcnt lgkmcnt(0)
	s_load_dwordx2 s[6:7], s[6:7], 0x8
	v_lshlrev_b32_e32 v2, 3, v4
	s_waitcnt lgkmcnt(0)
	v_mad_u64_u32 v[8:9], s[10:11], s6, v6, 0
	v_mov_b32_e32 v10, v9
	v_mad_u64_u32 v[10:11], s[6:7], s7, v6, v[10:11]
	v_mov_b32_e32 v9, v10
	v_lshl_add_u64 v[8:9], v[8:9], 3, s[8:9]
	v_lshl_add_u64 v[8:9], v[8:9], 0, v[2:3]
	global_load_dwordx2 v[12:13], v[8:9], off
	global_load_dwordx2 v[14:15], v[8:9], off offset:80
	global_load_dwordx2 v[16:17], v[8:9], off offset:160
	;; [unrolled: 1-line block ×4, first 2 shown]
	v_sub_u16_e32 v9, v0, v1
	v_add_u32_e32 v10, 10, v4
	v_add_u32_e32 v8, 20, v4
	v_add3_u32 v0, 0, v24, v2
	s_waitcnt vmcnt(3)
	ds_write2_b64 v0, v[12:13], v[14:15] offset1:10
	s_waitcnt vmcnt(1)
	ds_write2_b64 v0, v[16:17], v[18:19] offset0:20 offset1:30
	s_waitcnt vmcnt(0)
	ds_write_b64 v0, v[20:21] offset:320
.LBB0_4:
	s_or_b64 exec, exec, s[2:3]
	v_add_u32_e32 v5, 0, v24
	v_lshlrev_b32_e32 v11, 3, v4
	v_add_u32_e32 v7, v5, v11
	s_waitcnt lgkmcnt(0)
	s_load_dwordx2 s[6:7], s[4:5], 0x8
	s_waitcnt lgkmcnt(0)
	; wave barrier
	s_waitcnt lgkmcnt(0)
	v_add3_u32 v23, 0, v11, v24
	ds_read_b64 v[16:17], v7
	ds_read2_b64 v[0:3], v23 offset0:10 offset1:20
	ds_read2_b64 v[12:15], v23 offset0:30 offset1:40
	s_mov_b32 s2, 0x3f737871
	s_mov_b32 s4, 0x3f167918
	;; [unrolled: 1-line block ×3, first 2 shown]
	s_waitcnt lgkmcnt(1)
	v_pk_add_f32 v[34:35], v[0:1], v[2:3] neg_lo:[0,1] neg_hi:[0,1]
	s_waitcnt lgkmcnt(0)
	v_pk_add_f32 v[20:21], v[2:3], v[12:13]
	v_pk_add_f32 v[26:27], v[0:1], v[14:15] neg_lo:[0,1] neg_hi:[0,1]
	v_pk_fma_f32 v[20:21], v[20:21], 0.5, v[16:17] op_sel_hi:[1,0,1] neg_lo:[1,0,0] neg_hi:[1,0,0]
	v_pk_mul_f32 v[28:29], v[26:27], s[2:3] op_sel_hi:[1,0]
	v_pk_add_f32 v[30:31], v[2:3], v[12:13] neg_lo:[0,1] neg_hi:[0,1]
	v_pk_add_f32 v[36:37], v[14:15], v[12:13] neg_lo:[0,1] neg_hi:[0,1]
	v_pk_add_f32 v[18:19], v[16:17], v[0:1]
	v_pk_mul_f32 v[32:33], v[30:31], s[4:5] op_sel_hi:[1,0]
	v_pk_add_f32 v[34:35], v[34:35], v[36:37]
	v_pk_add_f32 v[36:37], v[20:21], v[28:29] op_sel:[0,1] op_sel_hi:[1,0] neg_lo:[0,1] neg_hi:[0,1]
	v_pk_add_f32 v[20:21], v[20:21], v[28:29] op_sel:[0,1] op_sel_hi:[1,0]
	v_pk_add_f32 v[18:19], v[18:19], v[2:3]
	v_pk_add_f32 v[20:21], v[20:21], v[32:33] op_sel:[0,1] op_sel_hi:[1,0]
	v_pk_add_f32 v[28:29], v[36:37], v[32:33] op_sel:[0,1] op_sel_hi:[1,0] neg_lo:[0,1] neg_hi:[0,1]
	v_pk_add_f32 v[18:19], v[18:19], v[12:13]
	v_mov_b32_e32 v32, v28
	v_mov_b32_e32 v33, v21
	v_lshl_add_u32 v22, v4, 5, v23
	v_pk_add_f32 v[18:19], v[18:19], v[14:15]
	v_pk_fma_f32 v[32:33], v[34:35], s[10:11], v[32:33] op_sel_hi:[1,0,1]
	s_waitcnt lgkmcnt(0)
	; wave barrier
	ds_write2_b64 v22, v[18:19], v[32:33] offset1:1
	v_pk_add_f32 v[18:19], v[0:1], v[14:15]
	v_pk_add_f32 v[0:1], v[2:3], v[0:1] neg_lo:[0,1] neg_hi:[0,1]
	v_pk_add_f32 v[2:3], v[12:13], v[14:15] neg_lo:[0,1] neg_hi:[0,1]
	v_pk_fma_f32 v[16:17], v[18:19], 0.5, v[16:17] op_sel_hi:[1,0,1] neg_lo:[1,0,0] neg_hi:[1,0,0]
	v_pk_add_f32 v[0:1], v[0:1], v[2:3]
	v_pk_mul_f32 v[2:3], v[30:31], s[2:3] op_sel_hi:[1,0]
	v_pk_mul_f32 v[12:13], v[26:27], s[4:5] op_sel_hi:[1,0]
	v_pk_add_f32 v[14:15], v[16:17], v[2:3] op_sel:[0,1] op_sel_hi:[1,0]
	v_pk_add_f32 v[2:3], v[16:17], v[2:3] op_sel:[0,1] op_sel_hi:[1,0] neg_lo:[0,1] neg_hi:[0,1]
	v_mov_b32_e32 v21, v29
	v_pk_add_f32 v[2:3], v[2:3], v[12:13] op_sel:[0,1] op_sel_hi:[1,0]
	v_pk_add_f32 v[12:13], v[14:15], v[12:13] op_sel:[0,1] op_sel_hi:[1,0] neg_lo:[0,1] neg_hi:[0,1]
	v_mov_b32_e32 v15, v3
	v_mov_b32_e32 v14, v12
	;; [unrolled: 1-line block ×3, first 2 shown]
	v_pk_fma_f32 v[14:15], v[0:1], s[10:11], v[14:15] op_sel_hi:[1,0,1]
	v_pk_fma_f32 v[0:1], v[0:1], s[10:11], v[2:3] op_sel_hi:[1,0,1]
	;; [unrolled: 1-line block ×3, first 2 shown]
	s_load_dwordx2 s[8:9], s[0:1], 0x0
	ds_write2_b64 v22, v[14:15], v[0:1] offset0:2 offset1:3
	ds_write_b64 v22, v[12:13] offset:32
	s_waitcnt lgkmcnt(0)
	; wave barrier
	s_waitcnt lgkmcnt(0)
	ds_read2_b64 v[0:3], v23 offset0:25 offset1:35
	v_lshl_add_u32 v22, v10, 3, v5
	ds_read_b64 v[14:15], v7
	ds_read_b64 v[18:19], v22
	v_cmp_gt_u16_e64 s[2:3], 5, v9
	v_cmp_lt_u16_e64 s[4:5], 4, v9
	s_and_saveexec_b64 s[10:11], s[4:5]
	s_xor_b64 s[4:5], exec, s[10:11]
	s_or_saveexec_b64 s[4:5], s[4:5]
	v_lshlrev_b32_e32 v25, 3, v8
                                        ; implicit-def: $vgpr21
	s_xor_b64 exec, exec, s[4:5]
	s_cbranch_execz .LBB0_6
; %bb.5:
	v_add3_u32 v12, 0, v25, v24
	ds_read_b64 v[12:13], v12
	ds_read_b64 v[20:21], v23 offset:360
.LBB0_6:
	s_or_b64 exec, exec, s[4:5]
	s_movk_i32 s10, 0xcd
	v_mul_lo_u16_sdwa v26, v10, s10 dst_sel:DWORD dst_unused:UNUSED_PAD src0_sel:BYTE_0 src1_sel:DWORD
	v_lshrrev_b16_e32 v27, 10, v26
	v_mul_lo_u16_e32 v26, 5, v27
	v_add_u32_e32 v16, -5, v4
	v_sub_u16_e32 v30, v10, v26
	v_mov_b32_e32 v26, 3
	v_cndmask_b32_e64 v16, v16, v4, s[2:3]
	v_mov_b32_e32 v17, 0
	v_lshlrev_b32_sdwa v34, v26, v30 dst_sel:DWORD dst_unused:UNUSED_PAD src0_sel:DWORD src1_sel:BYTE_0
	v_lshl_add_u64 v[28:29], v[16:17], 3, s[8:9]
	global_load_dwordx2 v[30:31], v34, s[8:9]
	global_load_dwordx2 v[32:33], v[28:29], off
	v_mov_b32_e32 v28, 0x50
	v_cmp_lt_u16_e64 s[4:5], 4, v9
	s_movk_i32 s11, 0x50
	v_lshlrev_b32_e32 v16, 3, v16
	v_cndmask_b32_e64 v28, 0, v28, s[4:5]
	v_add_u32_e32 v28, 0, v28
	v_mad_u32_u24 v27, v27, s11, 0
	v_add3_u32 v16, v28, v16, v24
	v_add3_u32 v27, v27, v34, v24
	s_waitcnt lgkmcnt(0)
	; wave barrier
	s_waitcnt vmcnt(1) lgkmcnt(0)
	v_pk_mul_f32 v[28:29], v[30:31], v[2:3] op_sel:[0,1]
	s_waitcnt vmcnt(0)
	v_pk_mul_f32 v[34:35], v[32:33], v[0:1] op_sel:[0,1]
	v_pk_fma_f32 v[36:37], v[30:31], v[2:3], v[28:29] op_sel:[0,0,1] op_sel_hi:[1,1,0]
	v_pk_fma_f32 v[2:3], v[30:31], v[2:3], v[28:29] op_sel:[0,0,1] op_sel_hi:[1,0,0] neg_lo:[1,0,0] neg_hi:[1,0,0]
	v_pk_fma_f32 v[28:29], v[32:33], v[0:1], v[34:35] op_sel:[0,0,1] op_sel_hi:[1,1,0]
	v_pk_fma_f32 v[0:1], v[32:33], v[0:1], v[34:35] op_sel:[0,0,1] op_sel_hi:[1,0,0] neg_lo:[1,0,0] neg_hi:[1,0,0]
	v_mov_b32_e32 v37, v3
	v_mov_b32_e32 v29, v1
	v_pk_add_f32 v[2:3], v[14:15], v[28:29] neg_lo:[0,1] neg_hi:[0,1]
	v_pk_add_f32 v[0:1], v[18:19], v[36:37] neg_lo:[0,1] neg_hi:[0,1]
	v_pk_fma_f32 v[14:15], v[14:15], 2.0, v[2:3] op_sel_hi:[1,0,1] neg_lo:[0,0,1] neg_hi:[0,0,1]
	v_pk_fma_f32 v[18:19], v[18:19], 2.0, v[0:1] op_sel_hi:[1,0,1] neg_lo:[0,0,1] neg_hi:[0,0,1]
	ds_write2_b64 v16, v[14:15], v[2:3] offset1:5
	ds_write2_b64 v27, v[18:19], v[0:1] offset1:5
	s_and_saveexec_b64 s[4:5], s[2:3]
	s_cbranch_execz .LBB0_8
; %bb.7:
	v_mul_lo_u16_sdwa v0, v8, s10 dst_sel:DWORD dst_unused:UNUSED_PAD src0_sel:BYTE_0 src1_sel:DWORD
	v_lshrrev_b16_e32 v0, 10, v0
	v_mul_lo_u16_e32 v0, 5, v0
	v_sub_u16_e32 v0, v8, v0
	v_lshlrev_b32_sdwa v3, v26, v0 dst_sel:DWORD dst_unused:UNUSED_PAD src0_sel:DWORD src1_sel:BYTE_0
	global_load_dwordx2 v[0:1], v3, s[8:9]
	v_mov_b32_e32 v2, v21
	v_add3_u32 v16, 0, v3, v24
	s_waitcnt vmcnt(0)
	v_pk_mul_f32 v[2:3], v[2:3], v[0:1] op_sel_hi:[0,1]
	v_pk_fma_f32 v[14:15], v[20:21], v[0:1], v[2:3] op_sel:[0,0,1] op_sel_hi:[1,1,0]
	v_pk_fma_f32 v[0:1], v[20:21], v[0:1], v[2:3] op_sel:[0,0,1] op_sel_hi:[0,1,0] neg_lo:[1,0,0] neg_hi:[1,0,0]
	v_mov_b32_e32 v15, v1
	v_pk_add_f32 v[0:1], v[12:13], v[14:15] neg_lo:[0,1] neg_hi:[0,1]
	s_nop 0
	v_pk_fma_f32 v[2:3], v[12:13], 2.0, v[0:1] op_sel_hi:[1,0,1] neg_lo:[0,0,1] neg_hi:[0,0,1]
	ds_write2_b64 v16, v[2:3], v[0:1] offset0:40 offset1:45
.LBB0_8:
	s_or_b64 exec, exec, s[4:5]
	v_lshlrev_b32_e32 v16, 2, v4
	v_lshl_add_u64 v[16:17], v[16:17], 3, s[8:9]
	s_waitcnt lgkmcnt(0)
	; wave barrier
	s_waitcnt lgkmcnt(0)
	global_load_dwordx4 v[0:3], v[16:17], off offset:40
	global_load_dwordx4 v[12:15], v[16:17], off offset:56
	v_add3_u32 v26, 0, v25, v24
	ds_read2_b32 v[20:21], v7 offset1:1
	ds_read2_b64 v[16:19], v23 offset0:30 offset1:40
	ds_read_b64 v[24:25], v22
	ds_read_b64 v[26:27], v26
	s_mov_b32 s4, 0x3f737871
	s_mov_b32 s10, 0x3f167918
	;; [unrolled: 1-line block ×3, first 2 shown]
	s_waitcnt lgkmcnt(0)
	; wave barrier
	s_waitcnt vmcnt(1) lgkmcnt(0)
	v_pk_mul_f32 v[28:29], v[0:1], v[24:25] op_sel:[0,1]
	v_pk_mul_f32 v[30:31], v[2:3], v[26:27] op_sel:[0,1]
	s_waitcnt vmcnt(0)
	v_pk_mul_f32 v[32:33], v[12:13], v[16:17] op_sel:[0,1]
	v_pk_mul_f32 v[34:35], v[14:15], v[18:19] op_sel:[0,1]
	v_pk_fma_f32 v[36:37], v[0:1], v[24:25], v[28:29] op_sel:[0,0,1] op_sel_hi:[1,1,0]
	v_pk_fma_f32 v[0:1], v[0:1], v[24:25], v[28:29] op_sel:[0,0,1] op_sel_hi:[1,0,0] neg_lo:[1,0,0] neg_hi:[1,0,0]
	v_pk_fma_f32 v[24:25], v[2:3], v[26:27], v[30:31] op_sel:[0,0,1] op_sel_hi:[1,1,0]
	v_pk_fma_f32 v[2:3], v[2:3], v[26:27], v[30:31] op_sel:[0,0,1] op_sel_hi:[1,0,0] neg_lo:[1,0,0] neg_hi:[1,0,0]
	;; [unrolled: 2-line block ×4, first 2 shown]
	v_mov_b32_e32 v37, v1
	v_mov_b32_e32 v25, v3
	;; [unrolled: 1-line block ×4, first 2 shown]
	v_pk_add_f32 v[0:1], v[36:37], v[20:21]
	v_pk_add_f32 v[2:3], v[24:25], v[26:27]
	v_pk_add_f32 v[12:13], v[36:37], v[16:17] neg_lo:[0,1] neg_hi:[0,1]
	v_pk_add_f32 v[14:15], v[24:25], v[26:27] neg_lo:[0,1] neg_hi:[0,1]
	;; [unrolled: 1-line block ×3, first 2 shown]
	v_pk_add_f32 v[30:31], v[36:37], v[16:17]
	v_pk_add_f32 v[32:33], v[24:25], v[36:37] neg_lo:[0,1] neg_hi:[0,1]
	v_pk_add_f32 v[0:1], v[0:1], v[24:25]
	v_pk_fma_f32 v[2:3], v[2:3], 0.5, v[20:21] op_sel_hi:[1,0,1] neg_lo:[1,0,0] neg_hi:[1,0,0]
	v_pk_mul_f32 v[24:25], v[12:13], s[4:5] op_sel_hi:[1,0]
	v_pk_add_f32 v[28:29], v[16:17], v[26:27] neg_lo:[0,1] neg_hi:[0,1]
	v_pk_add_f32 v[34:35], v[26:27], v[16:17] neg_lo:[0,1] neg_hi:[0,1]
	v_pk_mul_f32 v[36:37], v[14:15], s[10:11] op_sel_hi:[1,0]
	v_pk_fma_f32 v[20:21], v[30:31], 0.5, v[20:21] op_sel_hi:[1,0,1] neg_lo:[1,0,0] neg_hi:[1,0,0]
	v_pk_mul_f32 v[14:15], v[14:15], s[4:5] op_sel_hi:[1,0]
	v_pk_add_f32 v[0:1], v[0:1], v[26:27]
	v_pk_add_f32 v[26:27], v[2:3], v[24:25] op_sel:[0,1] op_sel_hi:[1,0] neg_lo:[0,1] neg_hi:[0,1]
	v_pk_add_f32 v[2:3], v[2:3], v[24:25] op_sel:[0,1] op_sel_hi:[1,0]
	v_pk_mul_f32 v[12:13], v[12:13], s[10:11] op_sel_hi:[1,0]
	v_pk_add_f32 v[24:25], v[20:21], v[14:15] op_sel:[0,1] op_sel_hi:[1,0]
	v_pk_add_f32 v[14:15], v[20:21], v[14:15] op_sel:[0,1] op_sel_hi:[1,0] neg_lo:[0,1] neg_hi:[0,1]
	v_pk_add_f32 v[0:1], v[0:1], v[16:17]
	v_pk_add_f32 v[2:3], v[2:3], v[36:37] op_sel:[0,1] op_sel_hi:[1,0]
	v_pk_add_f32 v[16:17], v[26:27], v[36:37] op_sel:[0,1] op_sel_hi:[1,0] neg_lo:[0,1] neg_hi:[0,1]
	v_pk_add_f32 v[18:19], v[18:19], v[28:29]
	v_pk_add_f32 v[14:15], v[14:15], v[12:13] op_sel:[0,1] op_sel_hi:[1,0]
	v_pk_add_f32 v[12:13], v[24:25], v[12:13] op_sel:[0,1] op_sel_hi:[1,0] neg_lo:[0,1] neg_hi:[0,1]
	v_mov_b32_e32 v20, v16
	v_mov_b32_e32 v21, v3
	v_pk_add_f32 v[28:29], v[32:33], v[34:35]
	v_mov_b32_e32 v24, v12
	v_mov_b32_e32 v25, v15
	;; [unrolled: 1-line block ×4, first 2 shown]
	v_pk_fma_f32 v[12:13], v[18:19], s[12:13], v[20:21] op_sel_hi:[1,0,1]
	v_pk_fma_f32 v[16:17], v[28:29], s[12:13], v[24:25] op_sel_hi:[1,0,1]
	;; [unrolled: 1-line block ×4, first 2 shown]
	ds_write2_b64 v23, v[0:1], v[12:13] offset1:10
	ds_write2_b64 v23, v[16:17], v[14:15] offset0:20 offset1:30
	ds_write_b64 v23, v[2:3] offset:320
	s_waitcnt lgkmcnt(0)
	; wave barrier
	s_waitcnt lgkmcnt(0)
	ds_read_b64 v[0:1], v7
	v_sub_u32_e32 v14, v5, v11
	v_cmp_ne_u16_e64 s[4:5], 0, v9
                                        ; implicit-def: $vgpr12_vgpr13
                                        ; implicit-def: $vgpr3
	s_and_saveexec_b64 s[10:11], s[4:5]
	s_xor_b64 s[4:5], exec, s[10:11]
	s_cbranch_execz .LBB0_10
; %bb.9:
	v_mov_b32_e32 v2, 3
	v_lshlrev_b32_sdwa v2, v2, v9 dst_sel:DWORD dst_unused:UNUSED_PAD src0_sel:DWORD src1_sel:WORD_0
	global_load_dwordx2 v[12:13], v2, s[8:9] offset:360
	ds_read_b64 v[2:3], v14 offset:400
	v_mov_b32_e32 v17, 0.5
	v_mov_b32_e32 v18, v17
	s_waitcnt lgkmcnt(0)
	v_pk_add_f32 v[20:21], v[2:3], v[0:1]
	v_pk_add_f32 v[0:1], v[0:1], v[2:3] neg_lo:[0,1] neg_hi:[0,1]
	v_mov_b32_e32 v2, v21
	v_mov_b32_e32 v3, v0
	v_pk_mul_f32 v[24:25], v[2:3], 0.5 op_sel_hi:[1,0]
	s_waitcnt vmcnt(0)
	v_mov_b32_e32 v16, v13
	v_mov_b32_e32 v0, v25
	;; [unrolled: 1-line block ×4, first 2 shown]
	v_pk_mul_f32 v[0:1], v[16:17], v[0:1]
	v_pk_mul_f32 v[2:3], v[12:13], v[24:25] op_sel_hi:[0,1]
	v_pk_fma_f32 v[16:17], v[20:21], v[18:19], v[0:1]
	v_pk_fma_f32 v[0:1], v[20:21], v[18:19], v[0:1] neg_lo:[0,0,1] neg_hi:[0,0,1]
	v_add_f32_e32 v2, v2, v16
	v_sub_f32_e32 v3, v17, v3
	ds_write_b32 v7, v2
	v_pk_fma_f32 v[12:13], v[12:13], v[24:25], v[0:1] op_sel_hi:[0,1,1] neg_lo:[1,0,0] neg_hi:[1,0,0]
                                        ; implicit-def: $vgpr0_vgpr1
.LBB0_10:
	s_andn2_saveexec_b64 s[4:5], s[4:5]
	s_cbranch_execz .LBB0_12
; %bb.11:
	ds_read_b32 v9, v5 offset:204
	s_waitcnt lgkmcnt(1)
	v_mov_b32_e32 v2, v1
	v_add_f32_e32 v3, v1, v0
	ds_write_b32 v7, v3
	v_pk_add_f32 v[2:3], v[0:1], v[2:3] neg_lo:[0,1] neg_hi:[0,1]
	s_waitcnt lgkmcnt(1)
	v_xor_b32_e32 v0, 0x80000000, v9
	v_mov_b32_e32 v3, 0
	v_mov_b64_e32 v[12:13], v[2:3]
	ds_write_b32 v5, v0 offset:204
.LBB0_12:
	s_or_b64 exec, exec, s[4:5]
	v_mov_b32_e32 v11, 0
	s_waitcnt lgkmcnt(0)
	v_lshl_add_u64 v[0:1], v[10:11], 3, s[8:9]
	global_load_dwordx2 v[16:17], v[0:1], off offset:360
	ds_write_b32 v7, v3 offset:4
	ds_write_b64 v14, v[12:13] offset:400
	ds_read_b64 v[2:3], v22
	ds_read_b64 v[12:13], v14 offset:320
	v_mov_b32_e32 v1, 0.5
	v_mov_b32_e32 v18, v1
	s_waitcnt lgkmcnt(0)
	v_pk_add_f32 v[20:21], v[2:3], v[12:13]
	v_pk_add_f32 v[2:3], v[2:3], v[12:13] neg_lo:[0,1] neg_hi:[0,1]
	v_mov_b32_e32 v12, v21
	v_mov_b32_e32 v13, v2
	v_pk_mul_f32 v[12:13], v[12:13], 0.5 op_sel_hi:[1,0]
	s_waitcnt vmcnt(0)
	v_mov_b32_e32 v0, v17
	v_mov_b32_e32 v2, v13
	v_mov_b32_e32 v21, v12
	v_mov_b32_e32 v19, v17
	v_pk_mul_f32 v[2:3], v[0:1], v[2:3]
	s_nop 0
	v_pk_fma_f32 v[24:25], v[20:21], v[18:19], v[2:3]
	v_pk_fma_f32 v[2:3], v[20:21], v[18:19], v[2:3] neg_lo:[0,0,1] neg_hi:[0,0,1]
	v_pk_fma_f32 v[18:19], v[16:17], v[12:13], v[24:25]
	v_pk_fma_f32 v[20:21], v[16:17], v[12:13], v[24:25] op_sel_hi:[0,1,1] neg_lo:[1,0,0] neg_hi:[1,0,0]
	v_mov_b32_e32 v19, v21
	v_pk_fma_f32 v[2:3], v[16:17], v[12:13], v[2:3] op_sel_hi:[0,1,1] neg_lo:[1,0,0] neg_hi:[1,0,0]
	ds_write_b64 v22, v[18:19]
	ds_write_b64 v14, v[2:3] offset:320
	s_and_saveexec_b64 s[4:5], s[2:3]
	s_cbranch_execz .LBB0_14
; %bb.13:
	v_mov_b32_e32 v9, v11
	v_lshl_add_u64 v[2:3], v[8:9], 3, s[8:9]
	global_load_dwordx2 v[2:3], v[2:3], off offset:360
	v_lshl_add_u32 v7, v8, 3, v5
	ds_read_b64 v[8:9], v7
	ds_read_b64 v[10:11], v14 offset:240
	v_mov_b32_e32 v12, v1
	s_waitcnt lgkmcnt(0)
	v_pk_add_f32 v[16:17], v[8:9], v[10:11]
	v_pk_add_f32 v[8:9], v[8:9], v[10:11] neg_lo:[0,1] neg_hi:[0,1]
	v_mov_b32_e32 v10, v17
	v_mov_b32_e32 v11, v8
	v_pk_mul_f32 v[10:11], v[10:11], 0.5 op_sel_hi:[1,0]
	s_waitcnt vmcnt(0)
	v_mov_b32_e32 v0, v3
	v_mov_b32_e32 v8, v11
	;; [unrolled: 1-line block ×4, first 2 shown]
	v_pk_mul_f32 v[0:1], v[0:1], v[8:9]
	s_nop 0
	v_pk_fma_f32 v[8:9], v[16:17], v[12:13], v[0:1]
	v_pk_fma_f32 v[0:1], v[16:17], v[12:13], v[0:1] neg_lo:[0,0,1] neg_hi:[0,0,1]
	v_pk_fma_f32 v[12:13], v[2:3], v[10:11], v[8:9]
	v_pk_fma_f32 v[8:9], v[2:3], v[10:11], v[8:9] op_sel_hi:[0,1,1] neg_lo:[1,0,0] neg_hi:[1,0,0]
	v_mov_b32_e32 v13, v9
	v_pk_fma_f32 v[0:1], v[2:3], v[10:11], v[0:1] op_sel_hi:[0,1,1] neg_lo:[1,0,0] neg_hi:[1,0,0]
	ds_write_b64 v7, v[12:13]
	ds_write_b64 v14, v[0:1] offset:240
.LBB0_14:
	s_or_b64 exec, exec, s[4:5]
	s_waitcnt lgkmcnt(0)
	; wave barrier
	s_waitcnt lgkmcnt(0)
	s_and_saveexec_b64 s[2:3], vcc
	s_cbranch_execz .LBB0_17
; %bb.15:
	v_mad_u64_u32 v[0:1], s[2:3], s6, v6, 0
	s_load_dwordx2 s[0:1], s[0:1], 0x58
	v_mov_b32_e32 v2, v1
	v_mad_u64_u32 v[10:11], s[2:3], s7, v6, v[2:3]
	v_lshl_add_u32 v2, v4, 3, v5
	ds_read2_b64 v[6:9], v2 offset1:10
	v_mov_b32_e32 v1, v10
	v_mov_b32_e32 v5, 0
	s_waitcnt lgkmcnt(0)
	v_lshl_add_u64 v[0:1], v[0:1], 3, s[0:1]
	v_lshl_add_u64 v[10:11], v[4:5], 3, v[0:1]
	global_store_dwordx2 v[10:11], v[6:7], off
	ds_read2_b64 v[10:13], v2 offset0:20 offset1:30
	v_add_u32_e32 v6, 10, v4
	v_mov_b32_e32 v7, v5
	v_lshl_add_u64 v[6:7], v[6:7], 3, v[0:1]
	global_store_dwordx2 v[6:7], v[8:9], off
	v_add_u32_e32 v6, 20, v4
	v_mov_b32_e32 v7, v5
	v_lshl_add_u64 v[6:7], v[6:7], 3, v[0:1]
	ds_read_b64 v[8:9], v2 offset:320
	s_waitcnt lgkmcnt(1)
	global_store_dwordx2 v[6:7], v[10:11], off
	v_add_u32_e32 v6, 30, v4
	v_mov_b32_e32 v7, v5
	v_lshl_add_u64 v[6:7], v[6:7], 3, v[0:1]
	global_store_dwordx2 v[6:7], v[12:13], off
	v_add_u32_e32 v6, 40, v4
	v_mov_b32_e32 v7, v5
	v_lshl_add_u64 v[6:7], v[6:7], 3, v[0:1]
	v_cmp_eq_u32_e32 vcc, 9, v4
	s_waitcnt lgkmcnt(0)
	global_store_dwordx2 v[6:7], v[8:9], off
	s_and_b64 exec, exec, vcc
	s_cbranch_execz .LBB0_17
; %bb.16:
	ds_read_b64 v[2:3], v2 offset:328
	s_waitcnt lgkmcnt(0)
	global_store_dwordx2 v[0:1], v[2:3], off offset:400
.LBB0_17:
	s_endpgm
	.section	.rodata,"a",@progbits
	.p2align	6, 0x0
	.amdhsa_kernel fft_rtc_back_len50_factors_5_2_5_wgs_60_tpt_10_dim1_sp_op_CI_CI_unitstride_sbrr_R2C_dirReg
		.amdhsa_group_segment_fixed_size 0
		.amdhsa_private_segment_fixed_size 0
		.amdhsa_kernarg_size 96
		.amdhsa_user_sgpr_count 2
		.amdhsa_user_sgpr_dispatch_ptr 0
		.amdhsa_user_sgpr_queue_ptr 0
		.amdhsa_user_sgpr_kernarg_segment_ptr 1
		.amdhsa_user_sgpr_dispatch_id 0
		.amdhsa_user_sgpr_kernarg_preload_length 0
		.amdhsa_user_sgpr_kernarg_preload_offset 0
		.amdhsa_user_sgpr_private_segment_size 0
		.amdhsa_uses_dynamic_stack 0
		.amdhsa_enable_private_segment 0
		.amdhsa_system_sgpr_workgroup_id_x 1
		.amdhsa_system_sgpr_workgroup_id_y 0
		.amdhsa_system_sgpr_workgroup_id_z 0
		.amdhsa_system_sgpr_workgroup_info 0
		.amdhsa_system_vgpr_workitem_id 0
		.amdhsa_next_free_vgpr 38
		.amdhsa_next_free_sgpr 14
		.amdhsa_accum_offset 40
		.amdhsa_reserve_vcc 1
		.amdhsa_float_round_mode_32 0
		.amdhsa_float_round_mode_16_64 0
		.amdhsa_float_denorm_mode_32 3
		.amdhsa_float_denorm_mode_16_64 3
		.amdhsa_dx10_clamp 1
		.amdhsa_ieee_mode 1
		.amdhsa_fp16_overflow 0
		.amdhsa_tg_split 0
		.amdhsa_exception_fp_ieee_invalid_op 0
		.amdhsa_exception_fp_denorm_src 0
		.amdhsa_exception_fp_ieee_div_zero 0
		.amdhsa_exception_fp_ieee_overflow 0
		.amdhsa_exception_fp_ieee_underflow 0
		.amdhsa_exception_fp_ieee_inexact 0
		.amdhsa_exception_int_div_zero 0
	.end_amdhsa_kernel
	.text
.Lfunc_end0:
	.size	fft_rtc_back_len50_factors_5_2_5_wgs_60_tpt_10_dim1_sp_op_CI_CI_unitstride_sbrr_R2C_dirReg, .Lfunc_end0-fft_rtc_back_len50_factors_5_2_5_wgs_60_tpt_10_dim1_sp_op_CI_CI_unitstride_sbrr_R2C_dirReg
                                        ; -- End function
	.section	.AMDGPU.csdata,"",@progbits
; Kernel info:
; codeLenInByte = 2672
; NumSgprs: 20
; NumVgprs: 38
; NumAgprs: 0
; TotalNumVgprs: 38
; ScratchSize: 0
; MemoryBound: 0
; FloatMode: 240
; IeeeMode: 1
; LDSByteSize: 0 bytes/workgroup (compile time only)
; SGPRBlocks: 2
; VGPRBlocks: 4
; NumSGPRsForWavesPerEU: 20
; NumVGPRsForWavesPerEU: 38
; AccumOffset: 40
; Occupancy: 8
; WaveLimiterHint : 1
; COMPUTE_PGM_RSRC2:SCRATCH_EN: 0
; COMPUTE_PGM_RSRC2:USER_SGPR: 2
; COMPUTE_PGM_RSRC2:TRAP_HANDLER: 0
; COMPUTE_PGM_RSRC2:TGID_X_EN: 1
; COMPUTE_PGM_RSRC2:TGID_Y_EN: 0
; COMPUTE_PGM_RSRC2:TGID_Z_EN: 0
; COMPUTE_PGM_RSRC2:TIDIG_COMP_CNT: 0
; COMPUTE_PGM_RSRC3_GFX90A:ACCUM_OFFSET: 9
; COMPUTE_PGM_RSRC3_GFX90A:TG_SPLIT: 0
	.text
	.p2alignl 6, 3212836864
	.fill 256, 4, 3212836864
	.type	__hip_cuid_26497b5b14fbf111,@object ; @__hip_cuid_26497b5b14fbf111
	.section	.bss,"aw",@nobits
	.globl	__hip_cuid_26497b5b14fbf111
__hip_cuid_26497b5b14fbf111:
	.byte	0                               ; 0x0
	.size	__hip_cuid_26497b5b14fbf111, 1

	.ident	"AMD clang version 19.0.0git (https://github.com/RadeonOpenCompute/llvm-project roc-6.4.0 25133 c7fe45cf4b819c5991fe208aaa96edf142730f1d)"
	.section	".note.GNU-stack","",@progbits
	.addrsig
	.addrsig_sym __hip_cuid_26497b5b14fbf111
	.amdgpu_metadata
---
amdhsa.kernels:
  - .agpr_count:     0
    .args:
      - .actual_access:  read_only
        .address_space:  global
        .offset:         0
        .size:           8
        .value_kind:     global_buffer
      - .actual_access:  read_only
        .address_space:  global
        .offset:         8
        .size:           8
        .value_kind:     global_buffer
      - .actual_access:  read_only
        .address_space:  global
        .offset:         16
        .size:           8
        .value_kind:     global_buffer
      - .actual_access:  read_only
        .address_space:  global
        .offset:         24
        .size:           8
        .value_kind:     global_buffer
      - .offset:         32
        .size:           8
        .value_kind:     by_value
      - .actual_access:  read_only
        .address_space:  global
        .offset:         40
        .size:           8
        .value_kind:     global_buffer
      - .actual_access:  read_only
        .address_space:  global
        .offset:         48
        .size:           8
        .value_kind:     global_buffer
      - .offset:         56
        .size:           4
        .value_kind:     by_value
      - .actual_access:  read_only
        .address_space:  global
        .offset:         64
        .size:           8
        .value_kind:     global_buffer
      - .actual_access:  read_only
        .address_space:  global
        .offset:         72
        .size:           8
        .value_kind:     global_buffer
      - .actual_access:  read_only
        .address_space:  global
        .offset:         80
        .size:           8
        .value_kind:     global_buffer
      - .actual_access:  write_only
        .address_space:  global
        .offset:         88
        .size:           8
        .value_kind:     global_buffer
    .group_segment_fixed_size: 0
    .kernarg_segment_align: 8
    .kernarg_segment_size: 96
    .language:       OpenCL C
    .language_version:
      - 2
      - 0
    .max_flat_workgroup_size: 60
    .name:           fft_rtc_back_len50_factors_5_2_5_wgs_60_tpt_10_dim1_sp_op_CI_CI_unitstride_sbrr_R2C_dirReg
    .private_segment_fixed_size: 0
    .sgpr_count:     20
    .sgpr_spill_count: 0
    .symbol:         fft_rtc_back_len50_factors_5_2_5_wgs_60_tpt_10_dim1_sp_op_CI_CI_unitstride_sbrr_R2C_dirReg.kd
    .uniform_work_group_size: 1
    .uses_dynamic_stack: false
    .vgpr_count:     38
    .vgpr_spill_count: 0
    .wavefront_size: 64
amdhsa.target:   amdgcn-amd-amdhsa--gfx950
amdhsa.version:
  - 1
  - 2
...

	.end_amdgpu_metadata
